;; amdgpu-corpus repo=ROCm/rocFFT kind=compiled arch=gfx1201 opt=O3
	.text
	.amdgcn_target "amdgcn-amd-amdhsa--gfx1201"
	.amdhsa_code_object_version 6
	.protected	fft_rtc_fwd_len819_factors_9_7_13_wgs_117_tpt_117_sp_op_CI_CI_sbrr_dirReg ; -- Begin function fft_rtc_fwd_len819_factors_9_7_13_wgs_117_tpt_117_sp_op_CI_CI_sbrr_dirReg
	.globl	fft_rtc_fwd_len819_factors_9_7_13_wgs_117_tpt_117_sp_op_CI_CI_sbrr_dirReg
	.p2align	8
	.type	fft_rtc_fwd_len819_factors_9_7_13_wgs_117_tpt_117_sp_op_CI_CI_sbrr_dirReg,@function
fft_rtc_fwd_len819_factors_9_7_13_wgs_117_tpt_117_sp_op_CI_CI_sbrr_dirReg: ; @fft_rtc_fwd_len819_factors_9_7_13_wgs_117_tpt_117_sp_op_CI_CI_sbrr_dirReg
; %bb.0:
	s_clause 0x2
	s_load_b128 s[12:15], s[0:1], 0x18
	s_load_b128 s[8:11], s[0:1], 0x0
	;; [unrolled: 1-line block ×3, first 2 shown]
	v_mul_u32_u24_e32 v1, 0x231, v0
	v_mov_b32_e32 v3, 0
	s_wait_kmcnt 0x0
	s_load_b64 s[18:19], s[12:13], 0x0
	s_load_b64 s[16:17], s[14:15], 0x0
	v_lshrrev_b32_e32 v1, 16, v1
	v_cmp_lt_u64_e64 s2, s[10:11], 2
	s_delay_alu instid0(VALU_DEP_2)
	v_add_nc_u32_e32 v5, ttmp9, v1
	v_mov_b32_e32 v1, 0
	v_mov_b32_e32 v2, 0
	;; [unrolled: 1-line block ×3, first 2 shown]
	s_and_b32 vcc_lo, exec_lo, s2
	s_cbranch_vccnz .LBB0_8
; %bb.1:
	s_load_b64 s[2:3], s[0:1], 0x10
	v_mov_b32_e32 v1, 0
	v_mov_b32_e32 v2, 0
	s_add_nc_u64 s[20:21], s[14:15], 8
	s_add_nc_u64 s[22:23], s[12:13], 8
	s_mov_b64 s[24:25], 1
	s_delay_alu instid0(VALU_DEP_1)
	v_dual_mov_b32 v25, v2 :: v_dual_mov_b32 v24, v1
	s_wait_kmcnt 0x0
	s_add_nc_u64 s[26:27], s[2:3], 8
	s_mov_b32 s3, 0
.LBB0_2:                                ; =>This Inner Loop Header: Depth=1
	s_load_b64 s[28:29], s[26:27], 0x0
                                        ; implicit-def: $vgpr26_vgpr27
	s_mov_b32 s2, exec_lo
	s_wait_kmcnt 0x0
	v_or_b32_e32 v4, s29, v6
	s_delay_alu instid0(VALU_DEP_1)
	v_cmpx_ne_u64_e32 0, v[3:4]
	s_wait_alu 0xfffe
	s_xor_b32 s30, exec_lo, s2
	s_cbranch_execz .LBB0_4
; %bb.3:                                ;   in Loop: Header=BB0_2 Depth=1
	s_cvt_f32_u32 s2, s28
	s_cvt_f32_u32 s31, s29
	s_sub_nc_u64 s[36:37], 0, s[28:29]
	s_wait_alu 0xfffe
	s_delay_alu instid0(SALU_CYCLE_1) | instskip(SKIP_1) | instid1(SALU_CYCLE_2)
	s_fmamk_f32 s2, s31, 0x4f800000, s2
	s_wait_alu 0xfffe
	v_s_rcp_f32 s2, s2
	s_delay_alu instid0(TRANS32_DEP_1) | instskip(SKIP_1) | instid1(SALU_CYCLE_2)
	s_mul_f32 s2, s2, 0x5f7ffffc
	s_wait_alu 0xfffe
	s_mul_f32 s31, s2, 0x2f800000
	s_wait_alu 0xfffe
	s_delay_alu instid0(SALU_CYCLE_2) | instskip(SKIP_1) | instid1(SALU_CYCLE_2)
	s_trunc_f32 s31, s31
	s_wait_alu 0xfffe
	s_fmamk_f32 s2, s31, 0xcf800000, s2
	s_cvt_u32_f32 s35, s31
	s_wait_alu 0xfffe
	s_delay_alu instid0(SALU_CYCLE_1) | instskip(SKIP_1) | instid1(SALU_CYCLE_2)
	s_cvt_u32_f32 s34, s2
	s_wait_alu 0xfffe
	s_mul_u64 s[38:39], s[36:37], s[34:35]
	s_wait_alu 0xfffe
	s_mul_hi_u32 s41, s34, s39
	s_mul_i32 s40, s34, s39
	s_mul_hi_u32 s2, s34, s38
	s_mul_i32 s33, s35, s38
	s_wait_alu 0xfffe
	s_add_nc_u64 s[40:41], s[2:3], s[40:41]
	s_mul_hi_u32 s31, s35, s38
	s_mul_hi_u32 s42, s35, s39
	s_add_co_u32 s2, s40, s33
	s_wait_alu 0xfffe
	s_add_co_ci_u32 s2, s41, s31
	s_mul_i32 s38, s35, s39
	s_add_co_ci_u32 s39, s42, 0
	s_wait_alu 0xfffe
	s_add_nc_u64 s[38:39], s[2:3], s[38:39]
	s_wait_alu 0xfffe
	v_add_co_u32 v4, s2, s34, s38
	s_delay_alu instid0(VALU_DEP_1) | instskip(SKIP_1) | instid1(VALU_DEP_1)
	s_cmp_lg_u32 s2, 0
	s_add_co_ci_u32 s35, s35, s39
	v_readfirstlane_b32 s34, v4
	s_wait_alu 0xfffe
	s_delay_alu instid0(VALU_DEP_1)
	s_mul_u64 s[36:37], s[36:37], s[34:35]
	s_wait_alu 0xfffe
	s_mul_hi_u32 s39, s34, s37
	s_mul_i32 s38, s34, s37
	s_mul_hi_u32 s2, s34, s36
	s_mul_i32 s33, s35, s36
	s_wait_alu 0xfffe
	s_add_nc_u64 s[38:39], s[2:3], s[38:39]
	s_mul_hi_u32 s31, s35, s36
	s_mul_hi_u32 s34, s35, s37
	s_wait_alu 0xfffe
	s_add_co_u32 s2, s38, s33
	s_add_co_ci_u32 s2, s39, s31
	s_mul_i32 s36, s35, s37
	s_add_co_ci_u32 s37, s34, 0
	s_wait_alu 0xfffe
	s_add_nc_u64 s[36:37], s[2:3], s[36:37]
	s_wait_alu 0xfffe
	v_add_co_u32 v4, s2, v4, s36
	s_delay_alu instid0(VALU_DEP_1) | instskip(SKIP_1) | instid1(VALU_DEP_1)
	s_cmp_lg_u32 s2, 0
	s_add_co_ci_u32 s2, s35, s37
	v_mul_hi_u32 v13, v5, v4
	s_wait_alu 0xfffe
	v_mad_co_u64_u32 v[7:8], null, v5, s2, 0
	v_mad_co_u64_u32 v[9:10], null, v6, v4, 0
	;; [unrolled: 1-line block ×3, first 2 shown]
	s_delay_alu instid0(VALU_DEP_3) | instskip(SKIP_1) | instid1(VALU_DEP_4)
	v_add_co_u32 v4, vcc_lo, v13, v7
	s_wait_alu 0xfffd
	v_add_co_ci_u32_e32 v7, vcc_lo, 0, v8, vcc_lo
	s_delay_alu instid0(VALU_DEP_2) | instskip(SKIP_1) | instid1(VALU_DEP_2)
	v_add_co_u32 v4, vcc_lo, v4, v9
	s_wait_alu 0xfffd
	v_add_co_ci_u32_e32 v4, vcc_lo, v7, v10, vcc_lo
	s_wait_alu 0xfffd
	v_add_co_ci_u32_e32 v7, vcc_lo, 0, v12, vcc_lo
	s_delay_alu instid0(VALU_DEP_2) | instskip(SKIP_1) | instid1(VALU_DEP_2)
	v_add_co_u32 v4, vcc_lo, v4, v11
	s_wait_alu 0xfffd
	v_add_co_ci_u32_e32 v9, vcc_lo, 0, v7, vcc_lo
	s_delay_alu instid0(VALU_DEP_2) | instskip(SKIP_1) | instid1(VALU_DEP_3)
	v_mul_lo_u32 v10, s29, v4
	v_mad_co_u64_u32 v[7:8], null, s28, v4, 0
	v_mul_lo_u32 v11, s28, v9
	s_delay_alu instid0(VALU_DEP_2) | instskip(NEXT) | instid1(VALU_DEP_2)
	v_sub_co_u32 v7, vcc_lo, v5, v7
	v_add3_u32 v8, v8, v11, v10
	s_delay_alu instid0(VALU_DEP_1) | instskip(SKIP_1) | instid1(VALU_DEP_1)
	v_sub_nc_u32_e32 v10, v6, v8
	s_wait_alu 0xfffd
	v_subrev_co_ci_u32_e64 v10, s2, s29, v10, vcc_lo
	v_add_co_u32 v11, s2, v4, 2
	s_wait_alu 0xf1ff
	v_add_co_ci_u32_e64 v12, s2, 0, v9, s2
	v_sub_co_u32 v13, s2, v7, s28
	v_sub_co_ci_u32_e32 v8, vcc_lo, v6, v8, vcc_lo
	s_wait_alu 0xf1ff
	v_subrev_co_ci_u32_e64 v10, s2, 0, v10, s2
	s_delay_alu instid0(VALU_DEP_3) | instskip(NEXT) | instid1(VALU_DEP_3)
	v_cmp_le_u32_e32 vcc_lo, s28, v13
	v_cmp_eq_u32_e64 s2, s29, v8
	s_wait_alu 0xfffd
	v_cndmask_b32_e64 v13, 0, -1, vcc_lo
	v_cmp_le_u32_e32 vcc_lo, s29, v10
	s_wait_alu 0xfffd
	v_cndmask_b32_e64 v14, 0, -1, vcc_lo
	v_cmp_le_u32_e32 vcc_lo, s28, v7
	;; [unrolled: 3-line block ×3, first 2 shown]
	s_wait_alu 0xfffd
	v_cndmask_b32_e64 v15, 0, -1, vcc_lo
	v_cmp_eq_u32_e32 vcc_lo, s29, v10
	s_wait_alu 0xf1ff
	s_delay_alu instid0(VALU_DEP_2)
	v_cndmask_b32_e64 v7, v15, v7, s2
	s_wait_alu 0xfffd
	v_cndmask_b32_e32 v10, v14, v13, vcc_lo
	v_add_co_u32 v13, vcc_lo, v4, 1
	s_wait_alu 0xfffd
	v_add_co_ci_u32_e32 v14, vcc_lo, 0, v9, vcc_lo
	s_delay_alu instid0(VALU_DEP_3) | instskip(SKIP_1) | instid1(VALU_DEP_2)
	v_cmp_ne_u32_e32 vcc_lo, 0, v10
	s_wait_alu 0xfffd
	v_cndmask_b32_e32 v8, v14, v12, vcc_lo
	v_cndmask_b32_e32 v10, v13, v11, vcc_lo
	v_cmp_ne_u32_e32 vcc_lo, 0, v7
	s_wait_alu 0xfffd
	s_delay_alu instid0(VALU_DEP_2)
	v_dual_cndmask_b32 v27, v9, v8 :: v_dual_cndmask_b32 v26, v4, v10
.LBB0_4:                                ;   in Loop: Header=BB0_2 Depth=1
	s_wait_alu 0xfffe
	s_and_not1_saveexec_b32 s2, s30
	s_cbranch_execz .LBB0_6
; %bb.5:                                ;   in Loop: Header=BB0_2 Depth=1
	v_cvt_f32_u32_e32 v4, s28
	s_sub_co_i32 s30, 0, s28
	v_mov_b32_e32 v27, v3
	s_delay_alu instid0(VALU_DEP_2) | instskip(NEXT) | instid1(TRANS32_DEP_1)
	v_rcp_iflag_f32_e32 v4, v4
	v_mul_f32_e32 v4, 0x4f7ffffe, v4
	s_delay_alu instid0(VALU_DEP_1) | instskip(SKIP_1) | instid1(VALU_DEP_1)
	v_cvt_u32_f32_e32 v4, v4
	s_wait_alu 0xfffe
	v_mul_lo_u32 v7, s30, v4
	s_delay_alu instid0(VALU_DEP_1) | instskip(NEXT) | instid1(VALU_DEP_1)
	v_mul_hi_u32 v7, v4, v7
	v_add_nc_u32_e32 v4, v4, v7
	s_delay_alu instid0(VALU_DEP_1) | instskip(NEXT) | instid1(VALU_DEP_1)
	v_mul_hi_u32 v4, v5, v4
	v_mul_lo_u32 v7, v4, s28
	v_add_nc_u32_e32 v8, 1, v4
	s_delay_alu instid0(VALU_DEP_2) | instskip(NEXT) | instid1(VALU_DEP_1)
	v_sub_nc_u32_e32 v7, v5, v7
	v_subrev_nc_u32_e32 v9, s28, v7
	v_cmp_le_u32_e32 vcc_lo, s28, v7
	s_wait_alu 0xfffd
	s_delay_alu instid0(VALU_DEP_2) | instskip(NEXT) | instid1(VALU_DEP_1)
	v_dual_cndmask_b32 v7, v7, v9 :: v_dual_cndmask_b32 v4, v4, v8
	v_cmp_le_u32_e32 vcc_lo, s28, v7
	s_delay_alu instid0(VALU_DEP_2) | instskip(SKIP_1) | instid1(VALU_DEP_1)
	v_add_nc_u32_e32 v8, 1, v4
	s_wait_alu 0xfffd
	v_cndmask_b32_e32 v26, v4, v8, vcc_lo
.LBB0_6:                                ;   in Loop: Header=BB0_2 Depth=1
	s_wait_alu 0xfffe
	s_or_b32 exec_lo, exec_lo, s2
	v_mul_lo_u32 v4, v27, s28
	s_delay_alu instid0(VALU_DEP_2)
	v_mul_lo_u32 v9, v26, s29
	s_load_b64 s[30:31], s[22:23], 0x0
	v_mad_co_u64_u32 v[7:8], null, v26, s28, 0
	s_load_b64 s[28:29], s[20:21], 0x0
	s_add_nc_u64 s[24:25], s[24:25], 1
	s_add_nc_u64 s[20:21], s[20:21], 8
	s_wait_alu 0xfffe
	v_cmp_ge_u64_e64 s2, s[24:25], s[10:11]
	s_add_nc_u64 s[22:23], s[22:23], 8
	s_add_nc_u64 s[26:27], s[26:27], 8
	v_add3_u32 v4, v8, v9, v4
	v_sub_co_u32 v5, vcc_lo, v5, v7
	s_wait_alu 0xfffd
	s_delay_alu instid0(VALU_DEP_2) | instskip(SKIP_2) | instid1(VALU_DEP_1)
	v_sub_co_ci_u32_e32 v4, vcc_lo, v6, v4, vcc_lo
	s_and_b32 vcc_lo, exec_lo, s2
	s_wait_kmcnt 0x0
	v_mul_lo_u32 v6, s30, v4
	v_mul_lo_u32 v7, s31, v5
	v_mad_co_u64_u32 v[1:2], null, s30, v5, v[1:2]
	v_mul_lo_u32 v4, s28, v4
	v_mul_lo_u32 v8, s29, v5
	v_mad_co_u64_u32 v[24:25], null, s28, v5, v[24:25]
	s_delay_alu instid0(VALU_DEP_4) | instskip(NEXT) | instid1(VALU_DEP_2)
	v_add3_u32 v2, v7, v2, v6
	v_add3_u32 v25, v8, v25, v4
	s_wait_alu 0xfffe
	s_cbranch_vccnz .LBB0_9
; %bb.7:                                ;   in Loop: Header=BB0_2 Depth=1
	v_dual_mov_b32 v5, v26 :: v_dual_mov_b32 v6, v27
	s_branch .LBB0_2
.LBB0_8:
	s_delay_alu instid0(VALU_DEP_2) | instskip(NEXT) | instid1(VALU_DEP_2)
	v_dual_mov_b32 v25, v2 :: v_dual_mov_b32 v24, v1
	v_dual_mov_b32 v27, v6 :: v_dual_mov_b32 v26, v5
.LBB0_9:
	s_load_b64 s[2:3], s[0:1], 0x28
	v_mul_hi_u32 v3, 0x2302303, v0
	v_dual_mov_b32 v13, 0 :: v_dual_mov_b32 v12, 0
	v_dual_mov_b32 v9, 0 :: v_dual_mov_b32 v8, 0
	;; [unrolled: 1-line block ×4, first 2 shown]
	v_mul_u32_u24_e32 v3, 0x75, v3
                                        ; implicit-def: $vgpr11
                                        ; implicit-def: $vgpr15
                                        ; implicit-def: $vgpr19
                                        ; implicit-def: $vgpr17
	s_delay_alu instid0(VALU_DEP_1) | instskip(NEXT) | instid1(VALU_DEP_1)
	v_sub_nc_u32_e32 v30, v0, v3
                                        ; implicit-def: $vgpr3
	v_cmp_gt_u32_e64 s0, 0x5b, v30
	s_wait_kmcnt 0x0
	v_cmp_gt_u64_e32 vcc_lo, s[2:3], v[26:27]
	s_lshl_b64 s[2:3], s[10:11], 3
	s_delay_alu instid0(VALU_DEP_2)
	s_and_b32 s1, vcc_lo, s0
	s_wait_alu 0xfffe
	s_and_saveexec_b32 s10, s1
	s_cbranch_execz .LBB0_11
; %bb.10:
	s_add_nc_u64 s[12:13], s[12:13], s[2:3]
	v_mad_co_u64_u32 v[3:4], null, s18, v30, 0
	s_load_b64 s[12:13], s[12:13], 0x0
	v_add_nc_u32_e32 v16, 0x5b, v30
	v_add_nc_u32_e32 v18, 0xb6, v30
	v_add_nc_u32_e32 v19, 0x111, v30
	v_lshlrev_b64_e32 v[0:1], 3, v[1:2]
	v_add_nc_u32_e32 v32, 0x2d8, v30
	v_mov_b32_e32 v2, v4
	v_mad_co_u64_u32 v[5:6], null, s18, v16, 0
	v_mad_co_u64_u32 v[7:8], null, s18, v18, 0
	;; [unrolled: 1-line block ×3, first 2 shown]
	s_delay_alu instid0(VALU_DEP_4) | instskip(NEXT) | instid1(VALU_DEP_4)
	v_mad_co_u64_u32 v[13:14], null, s19, v30, v[2:3]
	v_dual_mov_b32 v2, v6 :: v_dual_add_nc_u32 v31, 0x27d, v30
	s_delay_alu instid0(VALU_DEP_4)
	v_mov_b32_e32 v6, v8
	v_mad_co_u64_u32 v[22:23], null, s18, v32, 0
	s_wait_kmcnt 0x0
	v_mul_lo_u32 v4, s13, v26
	v_mul_lo_u32 v17, s12, v27
	v_mad_co_u64_u32 v[11:12], null, s12, v26, 0
	v_mov_b32_e32 v8, v10
	v_add_nc_u32_e32 v20, 0x16c, v30
	s_delay_alu instid0(VALU_DEP_1) | instskip(NEXT) | instid1(VALU_DEP_4)
	v_mad_co_u64_u32 v[14:15], null, s18, v20, 0
	v_add3_u32 v12, v12, v17, v4
	v_mov_b32_e32 v4, v13
	s_delay_alu instid0(VALU_DEP_2)
	v_lshlrev_b64_e32 v[10:11], 3, v[11:12]
	v_mad_co_u64_u32 v[12:13], null, s19, v19, v[8:9]
	v_add_nc_u32_e32 v13, 0x1c7, v30
	v_mad_co_u64_u32 v[16:17], null, s19, v16, v[2:3]
	v_mad_co_u64_u32 v[17:18], null, s19, v18, v[6:7]
	v_lshlrev_b64_e32 v[2:3], 3, v[3:4]
	v_add_co_u32 v4, s1, s4, v10
	s_wait_alu 0xf1ff
	v_add_co_ci_u32_e64 v10, s1, s5, v11, s1
	v_mov_b32_e32 v6, v16
	s_delay_alu instid0(VALU_DEP_3)
	v_add_co_u32 v28, s1, v4, v0
	v_mov_b32_e32 v8, v17
	s_wait_alu 0xf1ff
	v_add_co_ci_u32_e64 v29, s1, v10, v1, s1
	v_mov_b32_e32 v10, v12
	v_lshlrev_b64_e32 v[0:1], 3, v[5:6]
	v_lshlrev_b64_e32 v[4:5], 3, v[7:8]
	v_mov_b32_e32 v6, v15
	v_mad_co_u64_u32 v[16:17], null, s18, v13, 0
	v_lshlrev_b64_e32 v[7:8], 3, v[9:10]
	v_add_nc_u32_e32 v12, 0x222, v30
	v_add_co_u32 v2, s1, v28, v2
	s_wait_alu 0xf1ff
	v_add_co_ci_u32_e64 v3, s1, v29, v3, s1
	s_delay_alu instid0(VALU_DEP_4)
	v_mad_co_u64_u32 v[9:10], null, s19, v20, v[6:7]
	v_mad_co_u64_u32 v[10:11], null, s18, v12, 0
	v_mov_b32_e32 v6, v17
	v_add_co_u32 v0, s1, v28, v0
	s_wait_alu 0xf1ff
	v_add_co_ci_u32_e64 v1, s1, v29, v1, s1
	v_add_co_u32 v4, s1, v28, v4
	v_mad_co_u64_u32 v[19:20], null, s19, v13, v[6:7]
	v_mov_b32_e32 v6, v11
	s_wait_alu 0xf1ff
	v_add_co_ci_u32_e64 v5, s1, v29, v5, s1
	v_add_co_u32 v17, s1, v28, v7
	s_wait_alu 0xf1ff
	v_add_co_ci_u32_e64 v18, s1, v29, v8, s1
	v_mad_co_u64_u32 v[11:12], null, s19, v12, v[6:7]
	v_mov_b32_e32 v15, v9
	s_clause 0x3
	global_load_b64 v[2:3], v[2:3], off
	global_load_b64 v[12:13], v[0:1], off
	;; [unrolled: 1-line block ×4, first 2 shown]
	v_mad_co_u64_u32 v[20:21], null, s18, v31, 0
	v_mov_b32_e32 v17, v19
	v_lshlrev_b64_e32 v[4:5], 3, v[14:15]
	v_lshlrev_b64_e32 v[10:11], 3, v[10:11]
	s_delay_alu instid0(VALU_DEP_3) | instskip(SKIP_1) | instid1(VALU_DEP_4)
	v_lshlrev_b64_e32 v[14:15], 3, v[16:17]
	v_mov_b32_e32 v0, v21
	v_add_co_u32 v4, s1, v28, v4
	s_wait_alu 0xf1ff
	v_add_co_ci_u32_e64 v5, s1, v29, v5, s1
	s_delay_alu instid0(VALU_DEP_3) | instskip(SKIP_1) | instid1(VALU_DEP_2)
	v_mad_co_u64_u32 v[0:1], null, s19, v31, v[0:1]
	v_mov_b32_e32 v1, v23
	v_mov_b32_e32 v21, v0
	v_add_co_u32 v0, s1, v28, v14
	s_wait_loadcnt 0x3
	s_delay_alu instid0(VALU_DEP_3) | instskip(SKIP_3) | instid1(VALU_DEP_3)
	v_mad_co_u64_u32 v[16:17], null, s19, v32, v[1:2]
	s_wait_alu 0xf1ff
	v_add_co_ci_u32_e64 v1, s1, v29, v15, s1
	v_lshlrev_b64_e32 v[14:15], 3, v[20:21]
	v_mov_b32_e32 v23, v16
	v_add_co_u32 v16, s1, v28, v10
	s_wait_alu 0xf1ff
	v_add_co_ci_u32_e64 v17, s1, v29, v11, s1
	s_delay_alu instid0(VALU_DEP_3) | instskip(SKIP_3) | instid1(VALU_DEP_3)
	v_lshlrev_b64_e32 v[10:11], 3, v[22:23]
	v_add_co_u32 v18, s1, v28, v14
	s_wait_alu 0xf1ff
	v_add_co_ci_u32_e64 v19, s1, v29, v15, s1
	v_add_co_u32 v20, s1, v28, v10
	s_wait_alu 0xf1ff
	v_add_co_ci_u32_e64 v21, s1, v29, v11, s1
	s_clause 0x4
	global_load_b64 v[4:5], v[4:5], off
	global_load_b64 v[10:11], v[0:1], off
	;; [unrolled: 1-line block ×5, first 2 shown]
.LBB0_11:
	s_wait_alu 0xfffe
	s_or_b32 exec_lo, exec_lo, s10
	s_wait_loadcnt 0x1
	v_dual_sub_f32 v21, v8, v16 :: v_dual_sub_f32 v20, v9, v17
	s_wait_loadcnt 0x0
	v_add_f32_e32 v23, v12, v18
	v_sub_f32_e32 v22, v12, v18
	s_delay_alu instid0(VALU_DEP_3) | instskip(SKIP_3) | instid1(VALU_DEP_4)
	v_dual_sub_f32 v18, v13, v19 :: v_dual_mul_f32 v35, 0x3f7c1c5c, v21
	v_dual_mul_f32 v36, 0x3f7c1c5c, v20 :: v_dual_sub_f32 v33, v7, v15
	v_add_f32_e32 v28, v13, v19
	v_dual_sub_f32 v34, v6, v14 :: v_dual_add_f32 v19, v8, v16
	v_fmac_f32_e32 v35, 0x3f248dbb, v22
	s_delay_alu instid0(VALU_DEP_4) | instskip(SKIP_1) | instid1(VALU_DEP_2)
	v_dual_fmac_f32 v36, 0x3f248dbb, v18 :: v_dual_add_f32 v15, v7, v15
	v_dual_add_f32 v32, v9, v17 :: v_dual_sub_f32 v17, v4, v10
	v_dual_fmac_f32 v35, 0x3f5db3d7, v34 :: v_dual_fmac_f32 v36, 0x3f5db3d7, v33
	v_dual_fmamk_f32 v0, v23, 0x3f441b7d, v2 :: v_dual_add_f32 v29, v4, v10
	s_delay_alu instid0(VALU_DEP_2) | instskip(SKIP_1) | instid1(VALU_DEP_3)
	v_dual_sub_f32 v16, v5, v11 :: v_dual_fmac_f32 v35, 0x3eaf1d44, v17
	v_dual_add_f32 v14, v6, v14 :: v_dual_fmamk_f32 v1, v28, 0x3f441b7d, v3
	v_fmac_f32_e32 v0, 0x3e31d0d4, v19
	s_delay_alu instid0(VALU_DEP_3) | instskip(SKIP_1) | instid1(VALU_DEP_3)
	v_dual_fmac_f32 v36, 0x3eaf1d44, v16 :: v_dual_add_f32 v31, v5, v11
	v_mul_f32_e32 v7, 0x3f248dbb, v16
	v_dual_fmac_f32 v1, 0x3e31d0d4, v32 :: v_dual_fmac_f32 v0, -0.5, v14
	v_mul_f32_e32 v6, 0x3f248dbb, v17
	s_delay_alu instid0(VALU_DEP_4) | instskip(NEXT) | instid1(VALU_DEP_3)
	v_dual_fmamk_f32 v8, v29, 0x3f441b7d, v2 :: v_dual_fmamk_f32 v9, v31, 0x3f441b7d, v3
	v_fmac_f32_e32 v1, -0.5, v15
	s_add_nc_u64 s[2:3], s[14:15], s[2:3]
	s_delay_alu instid0(VALU_DEP_3) | instskip(SKIP_3) | instid1(VALU_DEP_3)
	v_fma_f32 v37, 0x3f7c1c5c, v22, -v6
	v_fma_f32 v6, 0x3f7c1c5c, v18, -v7
	v_dual_fmac_f32 v8, 0x3e31d0d4, v23 :: v_dual_fmac_f32 v9, 0x3e31d0d4, v28
	v_fmac_f32_e32 v0, 0xbf708fb2, v29
	v_dual_fmac_f32 v37, 0xbf5db3d7, v34 :: v_dual_fmac_f32 v6, 0xbf5db3d7, v33
	s_delay_alu instid0(VALU_DEP_3) | instskip(NEXT) | instid1(VALU_DEP_4)
	v_dual_fmac_f32 v8, -0.5, v14 :: v_dual_fmac_f32 v1, 0xbf708fb2, v31
	v_fmac_f32_e32 v9, -0.5, v15
	s_delay_alu instid0(VALU_DEP_3) | instskip(NEXT) | instid1(VALU_DEP_3)
	v_dual_fmac_f32 v37, 0x3eaf1d44, v21 :: v_dual_fmac_f32 v6, 0x3eaf1d44, v20
	v_fmac_f32_e32 v8, 0xbf708fb2, v19
	s_delay_alu instid0(VALU_DEP_4) | instskip(NEXT) | instid1(VALU_DEP_4)
	v_dual_add_f32 v12, v36, v0 :: v_dual_sub_f32 v13, v1, v35
	v_fmac_f32_e32 v9, 0xbf708fb2, v32
	s_delay_alu instid0(VALU_DEP_3) | instskip(NEXT) | instid1(VALU_DEP_3)
	v_add_f32_e32 v0, v6, v8
	v_fma_f32 v8, -2.0, v36, v12
	s_delay_alu instid0(VALU_DEP_3) | instskip(SKIP_1) | instid1(VALU_DEP_4)
	v_sub_f32_e32 v1, v9, v37
	v_fma_f32 v9, 2.0, v35, v13
	v_fma_f32 v6, -2.0, v6, v0
	s_delay_alu instid0(VALU_DEP_3)
	v_fma_f32 v7, 2.0, v37, v1
	s_and_saveexec_b32 s1, s0
	s_cbranch_execz .LBB0_13
; %bb.12:
	v_dual_mul_f32 v35, 0x3f7c1c5c, v17 :: v_dual_mul_f32 v38, 0.5, v15
	v_dual_fmamk_f32 v36, v32, 0x3f441b7d, v3 :: v_dual_mul_f32 v37, 0.5, v14
	v_dual_mul_f32 v34, 0x3f5db3d7, v34 :: v_dual_mul_f32 v33, 0x3f5db3d7, v33
	s_delay_alu instid0(VALU_DEP_3) | instskip(NEXT) | instid1(VALU_DEP_3)
	v_fma_f32 v35, 0xbf248dbb, v21, -v35
	v_dual_fmac_f32 v36, 0x3e31d0d4, v31 :: v_dual_add_f32 v41, v28, v32
	v_dual_mul_f32 v39, 0x3f7c1c5c, v16 :: v_dual_add_f32 v16, v16, v18
	s_delay_alu instid0(VALU_DEP_3) | instskip(NEXT) | instid1(VALU_DEP_3)
	v_add_f32_e32 v32, v34, v35
	v_sub_f32_e32 v34, v36, v38
	s_delay_alu instid0(VALU_DEP_4) | instskip(SKIP_3) | instid1(VALU_DEP_4)
	v_add_f32_e32 v36, v15, v41
	v_fmamk_f32 v40, v19, 0x3f441b7d, v2
	v_fma_f32 v35, 0xbf248dbb, v20, -v39
	v_dual_fmac_f32 v32, 0x3eaf1d44, v22 :: v_dual_add_f32 v19, v23, v19
	v_add_f32_e32 v5, v5, v36
	v_fmac_f32_e32 v34, 0xbf708fb2, v28
	s_delay_alu instid0(VALU_DEP_4) | instskip(SKIP_4) | instid1(VALU_DEP_3)
	v_add_f32_e32 v28, v33, v35
	v_add_f32_e32 v15, v3, v15
	;; [unrolled: 1-line block ×4, first 2 shown]
	v_dual_fmac_f32 v40, 0x3e31d0d4, v29 :: v_dual_sub_f32 v33, v34, v32
	v_sub_f32_e32 v17, v17, v21
	s_delay_alu instid0(VALU_DEP_3) | instskip(NEXT) | instid1(VALU_DEP_3)
	v_add_f32_e32 v11, v3, v11
	v_sub_f32_e32 v35, v40, v37
	v_dual_add_f32 v3, v31, v41 :: v_dual_fmac_f32 v28, 0x3eaf1d44, v18
	v_fma_f32 v5, 2.0, v32, v33
	v_add_f32_e32 v18, v29, v19
	s_delay_alu instid0(VALU_DEP_4) | instskip(SKIP_3) | instid1(VALU_DEP_4)
	v_fmac_f32_e32 v35, 0xbf708fb2, v23
	v_add_f32_e32 v23, v14, v19
	v_dual_add_f32 v14, v2, v14 :: v_dual_fmac_f32 v15, -0.5, v3
	v_sub_f32_e32 v3, v16, v20
	v_add_f32_e32 v32, v28, v35
	s_delay_alu instid0(VALU_DEP_4) | instskip(NEXT) | instid1(VALU_DEP_4)
	v_add_f32_e32 v4, v4, v23
	v_fmac_f32_e32 v14, -0.5, v18
	v_mad_u32_u24 v18, 0x48, v30, 0
	v_mul_f32_e32 v16, 0x3f5db3d7, v17
	v_fmac_f32_e32 v15, 0xbf5db3d7, v17
	v_dual_mul_f32 v17, 0x3f5db3d7, v3 :: v_dual_add_f32 v4, v10, v4
	v_fmac_f32_e32 v14, 0x3f5db3d7, v3
	s_delay_alu instid0(VALU_DEP_3) | instskip(NEXT) | instid1(VALU_DEP_3)
	v_fma_f32 v3, 2.0, v16, v15
	v_add_f32_e32 v10, v2, v4
	v_fma_f32 v4, -2.0, v28, v32
	s_delay_alu instid0(VALU_DEP_4)
	v_fma_f32 v2, -2.0, v17, v14
	ds_store_2addr_b64 v18, v[10:11], v[12:13] offset1:1
	ds_store_2addr_b64 v18, v[0:1], v[14:15] offset0:2 offset1:3
	ds_store_2addr_b64 v18, v[32:33], v[4:5] offset0:4 offset1:5
	;; [unrolled: 1-line block ×3, first 2 shown]
	ds_store_b64 v18, v[8:9] offset:64
.LBB0_13:
	s_wait_alu 0xfffe
	s_or_b32 exec_lo, exec_lo, s1
	v_and_b32_e32 v0, 0xff, v30
	s_load_b64 s[2:3], s[2:3], 0x0
	global_wb scope:SCOPE_SE
	s_wait_dscnt 0x0
	s_wait_kmcnt 0x0
	s_barrier_signal -1
	s_barrier_wait -1
	v_mul_lo_u16 v0, v0, 57
	global_inv scope:SCOPE_SE
	v_lshl_add_u32 v28, v30, 3, 0
	v_cmp_gt_u32_e64 s0, 63, v30
	v_lshrrev_b16 v4, 9, v0
	s_delay_alu instid0(VALU_DEP_3) | instskip(NEXT) | instid1(VALU_DEP_2)
	v_add_nc_u32_e32 v11, 0xc00, v28
	v_mul_lo_u16 v0, v4, 9
	v_and_b32_e32 v39, 0xffff, v4
	s_delay_alu instid0(VALU_DEP_2) | instskip(NEXT) | instid1(VALU_DEP_2)
	v_sub_nc_u16 v0, v30, v0
	v_mul_u32_u24_e32 v39, 0x1f8, v39
	s_delay_alu instid0(VALU_DEP_2) | instskip(NEXT) | instid1(VALU_DEP_1)
	v_and_b32_e32 v29, 0xff, v0
	v_mul_u32_u24_e32 v0, 6, v29
	s_delay_alu instid0(VALU_DEP_1)
	v_lshlrev_b32_e32 v5, 3, v0
	s_clause 0x2
	global_load_b128 v[0:3], v5, s[8:9]
	global_load_b128 v[12:15], v5, s[8:9] offset:16
	global_load_b128 v[16:19], v5, s[8:9] offset:32
	ds_load_2addr_b64 v[20:23], v28 offset1:117
	v_add_nc_u32_e32 v10, 0x400, v28
	ds_load_2addr_b64 v[31:34], v10 offset0:106 offset1:223
	ds_load_2addr_b64 v[35:38], v11 offset0:84 offset1:201
	ds_load_b64 v[4:5], v28 offset:5616
	global_wb scope:SCOPE_SE
	s_wait_loadcnt_dscnt 0x0
	s_barrier_signal -1
	s_barrier_wait -1
	global_inv scope:SCOPE_SE
	v_dual_mul_f32 v40, v3, v32 :: v_dual_mul_f32 v41, v13, v34
	v_mul_f32_e32 v42, v15, v36
	v_mul_f32_e32 v44, v19, v5
	v_lshlrev_b32_e32 v29, 3, v29
	v_mul_f32_e32 v19, v19, v4
	s_delay_alu instid0(VALU_DEP_3) | instskip(NEXT) | instid1(VALU_DEP_3)
	v_fma_f32 v4, v18, v4, -v44
	v_add3_u32 v29, 0, v39, v29
	v_mul_f32_e32 v39, v1, v23
	v_mul_f32_e32 v1, v1, v22
	v_fmac_f32_e32 v19, v18, v5
	s_delay_alu instid0(VALU_DEP_3) | instskip(SKIP_4) | instid1(VALU_DEP_4)
	v_fma_f32 v22, v0, v22, -v39
	v_mul_f32_e32 v13, v13, v33
	v_mul_f32_e32 v3, v3, v31
	v_fmac_f32_e32 v1, v0, v23
	v_fma_f32 v0, v2, v31, -v40
	v_fmac_f32_e32 v13, v12, v34
	v_mul_f32_e32 v43, v17, v38
	v_fmac_f32_e32 v3, v2, v32
	v_fma_f32 v2, v12, v33, -v41
	v_fma_f32 v12, v14, v35, -v42
	v_mul_f32_e32 v15, v15, v35
	v_fma_f32 v5, v16, v37, -v43
	s_delay_alu instid0(VALU_DEP_1) | instskip(NEXT) | instid1(VALU_DEP_4)
	v_add_f32_e32 v18, v0, v5
	v_dual_sub_f32 v0, v0, v5 :: v_dual_add_f32 v5, v2, v12
	s_delay_alu instid0(VALU_DEP_4) | instskip(SKIP_2) | instid1(VALU_DEP_3)
	v_dual_sub_f32 v2, v12, v2 :: v_dual_fmac_f32 v15, v14, v36
	v_dual_add_f32 v14, v22, v4 :: v_dual_mul_f32 v17, v17, v37
	v_sub_f32_e32 v4, v22, v4
	v_dual_add_f32 v31, v2, v0 :: v_dual_sub_f32 v12, v15, v13
	s_delay_alu instid0(VALU_DEP_3) | instskip(NEXT) | instid1(VALU_DEP_4)
	v_sub_f32_e32 v22, v18, v14
	v_dual_fmac_f32 v17, v16, v38 :: v_dual_add_f32 v16, v1, v19
	v_sub_f32_e32 v1, v1, v19
	v_dual_sub_f32 v33, v2, v0 :: v_dual_sub_f32 v2, v4, v2
	v_sub_f32_e32 v35, v0, v4
	v_add_f32_e32 v4, v31, v4
	v_add_f32_e32 v19, v3, v17
	v_sub_f32_e32 v3, v3, v17
	s_delay_alu instid0(VALU_DEP_1)
	v_add_f32_e32 v32, v12, v3
	v_sub_f32_e32 v34, v12, v3
	v_sub_f32_e32 v12, v1, v12
	v_add_f32_e32 v17, v13, v15
	v_add_f32_e32 v13, v18, v14
	v_sub_f32_e32 v14, v14, v5
	v_sub_f32_e32 v18, v5, v18
	s_delay_alu instid0(VALU_DEP_2) | instskip(SKIP_3) | instid1(VALU_DEP_4)
	v_dual_add_f32 v5, v5, v13 :: v_dual_mul_f32 v14, 0x3f4a47b2, v14
	v_add_f32_e32 v15, v19, v16
	v_dual_sub_f32 v23, v19, v16 :: v_dual_sub_f32 v16, v16, v17
	v_sub_f32_e32 v19, v17, v19
	v_add_f32_e32 v0, v5, v20
	s_delay_alu instid0(VALU_DEP_3) | instskip(NEXT) | instid1(VALU_DEP_3)
	v_dual_mul_f32 v16, 0x3f4a47b2, v16 :: v_dual_sub_f32 v3, v3, v1
	v_mul_f32_e32 v31, 0x3d64c772, v19
	s_delay_alu instid0(VALU_DEP_2) | instskip(NEXT) | instid1(VALU_DEP_3)
	v_fmamk_f32 v19, v19, 0x3d64c772, v16
	v_mul_f32_e32 v36, 0x3f5ff5aa, v3
	v_add_f32_e32 v13, v17, v15
	v_dual_mul_f32 v17, 0x3d64c772, v18 :: v_dual_fmamk_f32 v18, v18, 0x3d64c772, v14
	v_fma_f32 v14, 0xbf3bfb3b, v22, -v14
	s_delay_alu instid0(VALU_DEP_2) | instskip(SKIP_3) | instid1(VALU_DEP_2)
	v_fma_f32 v17, 0x3f3bfb3b, v22, -v17
	v_add_f32_e32 v15, v32, v1
	v_dual_mul_f32 v32, 0xbf08b237, v33 :: v_dual_mul_f32 v33, 0xbf08b237, v34
	v_dual_mul_f32 v34, 0x3f5ff5aa, v35 :: v_dual_add_f32 v1, v13, v21
	v_dual_fmamk_f32 v21, v2, 0x3eae86e6, v32 :: v_dual_fmamk_f32 v22, v12, 0x3eae86e6, v33
	v_fma_f32 v20, 0x3f3bfb3b, v23, -v31
	v_fma_f32 v16, 0xbf3bfb3b, v23, -v16
	;; [unrolled: 1-line block ×4, first 2 shown]
	v_fmamk_f32 v2, v5, 0xbf955555, v0
	v_fma_f32 v31, 0x3f5ff5aa, v3, -v33
	v_fma_f32 v33, 0xbeae86e6, v12, -v36
	v_fmac_f32_e32 v21, 0x3ee1c552, v4
	v_fmac_f32_e32 v23, 0x3ee1c552, v4
	;; [unrolled: 1-line block ×3, first 2 shown]
	v_add_f32_e32 v4, v18, v2
	v_add_f32_e32 v12, v17, v2
	v_fmac_f32_e32 v22, 0x3ee1c552, v15
	v_dual_fmac_f32 v33, 0x3ee1c552, v15 :: v_dual_add_f32 v14, v14, v2
	s_delay_alu instid0(VALU_DEP_2) | instskip(SKIP_1) | instid1(VALU_DEP_2)
	v_dual_fmac_f32 v31, 0x3ee1c552, v15 :: v_dual_add_f32 v2, v22, v4
	v_dual_sub_f32 v4, v4, v22 :: v_dual_fmamk_f32 v3, v13, 0xbf955555, v1
	v_sub_f32_e32 v18, v12, v31
	s_delay_alu instid0(VALU_DEP_2) | instskip(SKIP_2) | instid1(VALU_DEP_3)
	v_dual_add_f32 v12, v31, v12 :: v_dual_add_f32 v15, v16, v3
	v_dual_add_f32 v13, v20, v3 :: v_dual_add_f32 v16, v33, v14
	v_dual_sub_f32 v14, v14, v33 :: v_dual_add_f32 v5, v19, v3
	v_sub_f32_e32 v17, v15, v32
	s_delay_alu instid0(VALU_DEP_3)
	v_add_f32_e32 v19, v23, v13
	v_sub_f32_e32 v13, v13, v23
	v_add_f32_e32 v15, v32, v15
	v_sub_f32_e32 v3, v5, v21
	v_add_f32_e32 v5, v21, v5
	ds_store_2addr_b64 v29, v[0:1], v[2:3] offset1:9
	ds_store_2addr_b64 v29, v[16:17], v[18:19] offset0:18 offset1:27
	ds_store_2addr_b64 v29, v[12:13], v[14:15] offset0:36 offset1:45
	ds_store_b64 v29, v[4:5] offset:432
	global_wb scope:SCOPE_SE
	s_wait_dscnt 0x0
	s_barrier_signal -1
	s_barrier_wait -1
	global_inv scope:SCOPE_SE
                                        ; implicit-def: $vgpr29
                                        ; implicit-def: $vgpr23
	s_and_saveexec_b32 s1, s0
	s_cbranch_execnz .LBB0_16
; %bb.14:
	s_wait_alu 0xfffe
	s_or_b32 exec_lo, exec_lo, s1
	s_and_b32 s0, vcc_lo, s0
	s_wait_alu 0xfffe
	s_and_saveexec_b32 s1, s0
	s_cbranch_execnz .LBB0_17
.LBB0_15:
	s_endpgm
.LBB0_16:
	v_add_nc_u32_e32 v4, 0x800, v28
	v_add_nc_u32_e32 v20, 0x1000, v28
	ds_load_2addr_b64 v[0:3], v28 offset1:63
	ds_load_2addr_b64 v[16:19], v28 offset0:126 offset1:189
	ds_load_2addr_b64 v[12:15], v10 offset0:124 offset1:187
	;; [unrolled: 1-line block ×5, first 2 shown]
	ds_load_b64 v[28:29], v28 offset:6048
	s_wait_alu 0xfffe
	s_or_b32 exec_lo, exec_lo, s1
	s_and_b32 s0, vcc_lo, s0
	s_wait_alu 0xfffe
	s_and_saveexec_b32 s1, s0
	s_cbranch_execz .LBB0_15
.LBB0_17:
	v_mul_u32_u24_e32 v31, 12, v30
	v_mul_lo_u32 v32, s2, v27
	s_delay_alu instid0(VALU_DEP_2)
	v_lshlrev_b32_e32 v31, 3, v31
	s_clause 0x5
	global_load_b128 v[38:41], v31, s[8:9] offset:432
	global_load_b128 v[42:45], v31, s[8:9] offset:512
	;; [unrolled: 1-line block ×6, first 2 shown]
	v_mul_lo_u32 v31, s3, v26
	v_mad_co_u64_u32 v[26:27], null, s2, v26, 0
	s_delay_alu instid0(VALU_DEP_1)
	v_add3_u32 v27, v27, v32, v31
	s_wait_loadcnt_dscnt 0x400
	v_dual_mul_f32 v54, v3, v39 :: v_dual_mul_f32 v31, v28, v45
	v_dual_mul_f32 v56, v29, v45 :: v_dual_mul_f32 v45, v2, v39
	s_wait_loadcnt 0x2
	v_mul_f32_e32 v68, v21, v53
	v_dual_mul_f32 v57, v17, v41 :: v_dual_mul_f32 v32, v22, v43
	v_dual_mul_f32 v67, v23, v43 :: v_dual_mul_f32 v58, v12, v49
	;; [unrolled: 1-line block ×3, first 2 shown]
	v_mul_f32_e32 v43, v19, v47
	v_mul_f32_e32 v33, v20, v53
	v_dual_mul_f32 v55, v18, v47 :: v_dual_fmac_f32 v32, v23, v42
	s_wait_loadcnt 0x0
	v_dual_mul_f32 v47, v13, v49 :: v_dual_mul_f32 v36, v6, v64
	v_dual_mul_f32 v53, v11, v51 :: v_dual_fmac_f32 v58, v13, v48
	v_mul_f32_e32 v51, v9, v66
	v_dual_mul_f32 v39, v14, v60 :: v_dual_fmac_f32 v34, v11, v50
	v_fma_f32 v54, v2, v38, -v54
	v_fma_f32 v28, v28, v44, -v56
	v_dual_mul_f32 v35, v8, v66 :: v_dual_mul_f32 v66, v7, v64
	v_fmac_f32_e32 v55, v19, v46
	v_fma_f32 v71, v12, v48, -v47
	v_fmac_f32_e32 v33, v21, v52
	v_fmac_f32_e32 v41, v17, v40
	v_fma_f32 v17, v20, v52, -v68
	v_dual_mul_f32 v49, v15, v60 :: v_dual_mul_f32 v60, v5, v62
	v_fma_f32 v72, v18, v46, -v43
	v_fma_f32 v18, v10, v50, -v53
	v_fmac_f32_e32 v36, v7, v63
	s_delay_alu instid0(VALU_DEP_4)
	v_fma_f32 v43, v14, v59, -v49
	v_fma_f32 v14, v8, v65, -v51
	v_dual_add_f32 v8, v72, v17 :: v_dual_fmac_f32 v39, v15, v59
	v_fma_f32 v15, v6, v63, -v66
	v_add_f32_e32 v10, v54, v28
	v_add_f32_e32 v6, v71, v18
	v_dual_sub_f32 v56, v55, v33 :: v_dual_mul_f32 v37, v4, v62
	v_add_f32_e32 v12, v41, v32
	v_fma_f32 v64, v16, v40, -v57
	v_fma_f32 v19, v4, v61, -v60
	v_fmac_f32_e32 v31, v29, v44
	v_dual_fmac_f32 v37, v5, v61 :: v_dual_add_f32 v4, v43, v14
	v_dual_fmac_f32 v45, v3, v38 :: v_dual_sub_f32 v40, v54, v28
	v_sub_f32_e32 v21, v43, v14
	v_fma_f32 v16, v22, v42, -v67
	v_dual_fmac_f32 v35, v9, v65 :: v_dual_sub_f32 v38, v58, v34
	v_sub_f32_e32 v20, v19, v15
	v_add_f32_e32 v2, v37, v36
	v_dual_add_f32 v13, v45, v31 :: v_dual_add_f32 v46, v0, v54
	v_dual_mul_f32 v84, 0xbf29c268, v40 :: v_dual_sub_f32 v65, v45, v31
	v_dual_mul_f32 v70, 0x3eedf032, v21 :: v_dual_sub_f32 v69, v41, v32
	v_sub_f32_e32 v29, v71, v18
	v_sub_f32_e32 v61, v64, v16
	v_dual_sub_f32 v22, v37, v36 :: v_dual_sub_f32 v23, v39, v35
	v_mul_f32_e32 v62, 0xbf6f5d39, v20
	v_mul_f32_e32 v81, 0xbe750f2a, v65
	;; [unrolled: 1-line block ×3, first 2 shown]
	v_dual_mul_f32 v48, 0xbe750f2a, v69 :: v_dual_add_f32 v101, v46, v64
	v_dual_sub_f32 v51, v72, v17 :: v_dual_mul_f32 v60, 0x3f7e222b, v20
	v_dual_add_f32 v7, v58, v34 :: v_dual_mul_f32 v82, 0x3eedf032, v69
	s_delay_alu instid0(VALU_DEP_2)
	v_dual_add_f32 v9, v64, v16 :: v_dual_mul_f32 v86, 0xbf52af12, v51
	v_dual_add_f32 v45, v1, v45 :: v_dual_mul_f32 v54, 0xbf6f5d39, v22
	v_mul_f32_e32 v80, 0x3f52af12, v29
	v_dual_mul_f32 v63, 0xbf6f5d39, v21 :: v_dual_mul_f32 v92, 0xbf6f5d39, v40
	v_dual_mul_f32 v57, 0xbf6f5d39, v23 :: v_dual_mul_f32 v94, 0xbf6f5d39, v65
	v_dual_mul_f32 v85, 0x3f7e222b, v61 :: v_dual_add_f32 v72, v101, v72
	v_mul_f32_e32 v64, 0xbe750f2a, v56
	v_fma_f32 v106, 0xbf788fa5, v10, -v81
	v_dual_mul_f32 v77, 0xbe750f2a, v40 :: v_dual_mul_f32 v66, 0xbe750f2a, v61
	v_dual_mul_f32 v79, 0xbf29c268, v51 :: v_dual_add_f32 v100, v45, v41
	v_mul_f32_e32 v83, 0xbf29c268, v56
	v_dual_mul_f32 v102, 0xbf52af12, v21 :: v_dual_add_f32 v71, v72, v71
	v_fma_f32 v107, 0x3f62ad3f, v9, -v82
	v_fmamk_f32 v108, v13, 0xbf3f9e67, v84
	v_mul_f32_e32 v93, 0x3f29c268, v61
	v_fmamk_f32 v112, v13, 0xbeb58ec6, v92
	v_fma_f32 v113, 0xbeb58ec6, v10, -v94
	v_dual_add_f32 v72, v0, v106 :: v_dual_mul_f32 v95, 0x3f29c268, v69
	v_dual_add_f32 v11, v55, v33 :: v_dual_mul_f32 v76, 0x3f52af12, v38
	v_dual_mul_f32 v49, 0xbf52af12, v40 :: v_dual_mul_f32 v44, 0xbf52af12, v65
	v_dual_mul_f32 v47, 0xbf6f5d39, v61 :: v_dual_add_f32 v112, v1, v112
	v_dual_mul_f32 v42, 0xbf6f5d39, v69 :: v_dual_add_f32 v55, v100, v55
	v_dual_fmamk_f32 v104, v13, 0xbf788fa5, v77 :: v_dual_add_f32 v113, v0, v113
	v_mul_f32_e32 v89, 0x3f7e222b, v69
	v_fma_f32 v110, 0xbf3f9e67, v10, -v88
	v_add_f32_e32 v108, v1, v108
	v_add_f32_e32 v72, v72, v107
	v_fma_f32 v101, 0xbf3f9e67, v9, -v95
	v_fmamk_f32 v100, v12, 0xbf3f9e67, v93
	v_mul_f32_e32 v78, 0x3eedf032, v61
	v_dual_mul_f32 v73, 0x3e750f2a, v21 :: v_dual_add_f32 v110, v0, v110
	v_dual_mul_f32 v68, 0xbf7e222b, v40 :: v_dual_mul_f32 v53, 0xbf7e222b, v65
	v_dual_mul_f32 v46, 0xbeedf032, v40 :: v_dual_mul_f32 v41, 0xbeedf032, v65
	v_dual_mul_f32 v40, 0xbf52af12, v69 :: v_dual_add_f32 v55, v55, v58
	v_add_f32_e32 v58, v1, v104
	v_fma_f32 v111, 0x3df6dbef, v9, -v89
	v_mul_f32_e32 v45, 0xbf52af12, v61
	v_add_f32_e32 v101, v113, v101
	v_dual_mul_f32 v61, 0x3f52af12, v22 :: v_dual_add_f32 v100, v112, v100
	v_fma_f32 v112, 0x3f116cb1, v10, -v44
	v_mul_f32_e32 v69, 0x3eedf032, v38
	v_dual_fmamk_f32 v109, v12, 0x3df6dbef, v85 :: v_dual_fmamk_f32 v104, v13, 0x3df6dbef, v68
	v_fma_f32 v113, 0xbeb58ec6, v9, -v42
	s_delay_alu instid0(VALU_DEP_4) | instskip(NEXT) | instid1(VALU_DEP_3)
	v_add_f32_e32 v112, v0, v112
	v_dual_mul_f32 v67, 0x3f52af12, v20 :: v_dual_add_f32 v108, v108, v109
	s_delay_alu instid0(VALU_DEP_4) | instskip(NEXT) | instid1(VALU_DEP_3)
	v_dual_mul_f32 v75, 0x3f6f5d39, v51 :: v_dual_add_f32 v104, v1, v104
	v_dual_fmamk_f32 v109, v13, 0x3f116cb1, v49 :: v_dual_add_f32 v112, v112, v113
	v_fmamk_f32 v106, v12, 0xbf788fa5, v66
	v_dual_add_f32 v110, v110, v111 :: v_dual_fmamk_f32 v111, v12, 0xbeb58ec6, v47
	s_delay_alu instid0(VALU_DEP_3) | instskip(NEXT) | instid1(VALU_DEP_3)
	v_add_f32_e32 v109, v1, v109
	v_dual_mul_f32 v65, 0x3f6f5d39, v56 :: v_dual_add_f32 v104, v104, v106
	v_fmamk_f32 v106, v13, 0x3f62ad3f, v46
	v_fma_f32 v84, 0xbf3f9e67, v13, -v84
	v_mul_f32_e32 v103, 0xbe750f2a, v51
	v_dual_add_f32 v109, v109, v111 :: v_dual_fmac_f32 v82, 0x3f62ad3f, v9
	s_delay_alu instid0(VALU_DEP_3) | instskip(SKIP_3) | instid1(VALU_DEP_3)
	v_dual_fmamk_f32 v111, v12, 0x3f116cb1, v45 :: v_dual_add_f32 v84, v1, v84
	v_dual_add_f32 v106, v1, v106 :: v_dual_fmamk_f32 v105, v12, 0x3f62ad3f, v78
	v_dual_add_f32 v43, v71, v43 :: v_dual_fmac_f32 v88, 0xbf3f9e67, v10
	v_fma_f32 v77, 0xbf788fa5, v13, -v77
	v_dual_add_f32 v106, v106, v111 :: v_dual_mul_f32 v91, 0x3e750f2a, v38
	s_delay_alu instid0(VALU_DEP_4)
	v_add_f32_e32 v58, v58, v105
	v_fma_f32 v105, 0x3df6dbef, v10, -v53
	v_dual_mul_f32 v111, 0xbf52af12, v23 :: v_dual_add_f32 v88, v0, v88
	v_fma_f32 v92, 0xbeb58ec6, v13, -v92
	v_fmac_f32_e32 v89, 0x3df6dbef, v9
	v_dual_add_f32 v5, v39, v35 :: v_dual_mul_f32 v50, 0x3f7e222b, v22
	v_dual_add_f32 v3, v19, v15 :: v_dual_mul_f32 v90, 0xbf52af12, v56
	v_fma_f32 v107, 0xbf788fa5, v9, -v48
	v_add_f32_e32 v105, v0, v105
	v_add_f32_e32 v39, v55, v39
	v_dual_mul_f32 v55, 0xbf29c268, v22 :: v_dual_add_f32 v92, v1, v92
	v_dual_fmac_f32 v81, 0xbf788fa5, v10 :: v_dual_add_f32 v88, v88, v89
	v_fma_f32 v78, 0x3f62ad3f, v12, -v78
	v_dual_add_f32 v77, v1, v77 :: v_dual_fmac_f32 v94, 0xbeb58ec6, v10
	v_fma_f32 v85, 0x3df6dbef, v12, -v85
	v_fma_f32 v93, 0xbf3f9e67, v12, -v93
	v_fmamk_f32 v89, v11, 0xbf3f9e67, v79
	v_dual_mul_f32 v96, 0x3eedf032, v51 :: v_dual_mul_f32 v97, 0x3eedf032, v56
	v_dual_add_f32 v105, v105, v107 :: v_dual_mul_f32 v56, 0xbf7e222b, v56
	v_fma_f32 v107, 0x3f62ad3f, v10, -v41
	v_dual_mul_f32 v51, 0xbf7e222b, v51 :: v_dual_add_f32 v84, v84, v85
	v_add_f32_e32 v81, v0, v81
	v_dual_add_f32 v77, v77, v78 :: v_dual_add_f32 v92, v92, v93
	v_dual_mul_f32 v85, 0x3f7e222b, v23 :: v_dual_add_f32 v58, v58, v89
	v_fma_f32 v93, 0xbf3f9e67, v8, -v83
	v_fma_f32 v89, 0x3f116cb1, v8, -v90
	;; [unrolled: 1-line block ×3, first 2 shown]
	v_add_f32_e32 v107, v0, v107
	v_add_f32_e32 v94, v0, v94
	v_dual_add_f32 v72, v72, v93 :: v_dual_fmamk_f32 v93, v11, 0x3f62ad3f, v96
	v_dual_add_f32 v89, v110, v89 :: v_dual_fmamk_f32 v110, v11, 0xbeb58ec6, v75
	v_add_f32_e32 v81, v81, v82
	v_dual_add_f32 v107, v107, v113 :: v_dual_mul_f32 v78, 0x3f29c268, v38
	v_mul_f32_e32 v113, 0xbf29c268, v20
	v_add_f32_e32 v93, v100, v93
	v_fma_f32 v100, 0xbeb58ec6, v8, -v65
	v_fmac_f32_e32 v95, 0xbf3f9e67, v9
	v_dual_mul_f32 v98, 0xbf7e222b, v29 :: v_dual_mul_f32 v99, 0xbf7e222b, v38
	v_dual_mul_f32 v114, 0xbf6f5d39, v29 :: v_dual_mul_f32 v115, 0xbf6f5d39, v38
	s_delay_alu instid0(VALU_DEP_4) | instskip(NEXT) | instid1(VALU_DEP_4)
	v_dual_add_f32 v100, v105, v100 :: v_dual_mul_f32 v71, 0x3f29c268, v29
	v_add_f32_e32 v94, v94, v95
	v_fma_f32 v105, 0xbf788fa5, v8, -v64
	v_fmamk_f32 v38, v11, 0x3df6dbef, v51
	v_fmamk_f32 v95, v11, 0x3f116cb1, v86
	v_dual_mul_f32 v87, 0x3e750f2a, v29 :: v_dual_mul_f32 v52, 0x3e750f2a, v23
	v_dual_mul_f32 v59, 0x3eedf032, v23 :: v_dual_mul_f32 v74, 0x3eedf032, v29
	v_add_f32_e32 v104, v104, v110
	v_dual_mul_f32 v110, 0x3eedf032, v20 :: v_dual_add_f32 v29, v112, v105
	v_mul_f32_e32 v112, 0xbe750f2a, v20
	v_dual_add_f32 v20, v106, v38 :: v_dual_add_f32 v95, v108, v95
	v_fma_f32 v108, 0x3f62ad3f, v8, -v97
	v_mul_f32_e32 v82, 0x3f7e222b, v21
	v_fma_f32 v38, 0x3f116cb1, v11, -v86
	v_mul_f32_e32 v105, 0xbf29c268, v21
	v_fma_f32 v21, 0x3df6dbef, v8, -v56
	v_dual_add_f32 v101, v101, v108 :: v_dual_mul_f32 v116, 0xbe750f2a, v22
	v_fmamk_f32 v108, v11, 0xbf788fa5, v103
	s_delay_alu instid0(VALU_DEP_3) | instskip(SKIP_2) | instid1(VALU_DEP_4)
	v_dual_fmac_f32 v90, 0x3f116cb1, v8 :: v_dual_add_f32 v21, v107, v21
	v_mul_f32_e32 v23, 0xbf29c268, v23
	v_fmac_f32_e32 v97, 0x3f62ad3f, v8
	v_add_f32_e32 v108, v109, v108
	v_fmamk_f32 v86, v7, 0x3f116cb1, v80
	v_dual_fmac_f32 v83, 0xbf3f9e67, v8 :: v_dual_add_f32 v88, v88, v90
	v_fmamk_f32 v90, v7, 0x3f62ad3f, v74
	v_dual_mul_f32 v109, 0x3eedf032, v22 :: v_dual_add_f32 v94, v94, v97
	v_fma_f32 v22, 0xbf3f9e67, v11, -v79
	v_fma_f32 v79, 0x3f62ad3f, v11, -v96
	v_add_f32_e32 v19, v43, v19
	v_dual_fmamk_f32 v43, v7, 0xbf788fa5, v87 :: v_dual_add_f32 v90, v104, v90
	s_delay_alu instid0(VALU_DEP_4)
	v_add_f32_e32 v22, v77, v22
	v_fma_f32 v77, 0xbf788fa5, v6, -v91
	v_add_f32_e32 v38, v84, v38
	v_fma_f32 v84, 0x3df6dbef, v6, -v99
	;; [unrolled: 2-line block ×3, first 2 shown]
	v_dual_add_f32 v79, v92, v79 :: v_dual_fmamk_f32 v96, v7, 0xbf3f9e67, v71
	v_fma_f32 v92, 0x3f62ad3f, v6, -v69
	v_dual_add_f32 v58, v58, v86 :: v_dual_add_f32 v81, v81, v83
	v_fmamk_f32 v83, v7, 0x3df6dbef, v98
	v_fma_f32 v86, 0xbf3f9e67, v6, -v78
	s_delay_alu instid0(VALU_DEP_4)
	v_add_f32_e32 v92, v100, v92
	v_fma_f32 v80, 0x3f116cb1, v7, -v80
	v_fmac_f32_e32 v76, 0x3f116cb1, v6
	v_fma_f32 v87, 0xbf788fa5, v7, -v87
	v_fmac_f32_e32 v91, 0xbf788fa5, v6
	v_dual_add_f32 v39, v72, v39 :: v_dual_fmamk_f32 v72, v7, 0xbeb58ec6, v114
	v_dual_add_f32 v43, v95, v43 :: v_dual_fmamk_f32 v100, v5, 0x3f62ad3f, v70
	v_fma_f32 v95, 0xbeb58ec6, v6, -v115
	v_dual_add_f32 v77, v89, v77 :: v_dual_add_f32 v96, v108, v96
	v_fmamk_f32 v89, v5, 0xbeb58ec6, v63
	v_dual_add_f32 v83, v93, v83 :: v_dual_add_f32 v20, v20, v72
	v_dual_add_f32 v84, v101, v84 :: v_dual_fmamk_f32 v93, v2, 0x3df6dbef, v60
	v_add_f32_e32 v36, v37, v36
	v_fma_f32 v97, 0xbeb58ec6, v4, -v57
	v_fma_f32 v104, 0x3f62ad3f, v4, -v59
	v_fma_f32 v98, 0x3df6dbef, v7, -v98
	v_dual_add_f32 v29, v29, v86 :: v_dual_fmamk_f32 v106, v2, 0x3f116cb1, v67
	v_fmamk_f32 v86, v2, 0xbeb58ec6, v62
	v_dual_fmac_f32 v99, 0x3df6dbef, v6 :: v_dual_add_f32 v38, v38, v87
	v_add_f32_e32 v15, v19, v15
	v_add_f32_e32 v19, v22, v80
	;; [unrolled: 1-line block ×3, first 2 shown]
	v_dual_fmamk_f32 v76, v5, 0x3f116cb1, v102 :: v_dual_add_f32 v87, v88, v91
	v_dual_add_f32 v58, v58, v89 :: v_dual_fmamk_f32 v91, v5, 0x3df6dbef, v82
	v_fma_f32 v101, 0x3df6dbef, v3, -v50
	s_delay_alu instid0(VALU_DEP_3)
	v_dual_add_f32 v76, v90, v76 :: v_dual_add_f32 v21, v21, v95
	v_fmamk_f32 v88, v2, 0xbf3f9e67, v113
	v_dual_fmamk_f32 v95, v5, 0xbf788fa5, v73 :: v_dual_add_f32 v94, v94, v99
	v_fma_f32 v37, 0xbf788fa5, v4, -v52
	v_add_f32_e32 v79, v79, v98
	v_fma_f32 v98, 0x3df6dbef, v4, -v85
	v_dual_fmamk_f32 v89, v5, 0xbf3f9e67, v105 :: v_dual_add_f32 v36, v35, v36
	v_add_f32_e32 v39, v39, v97
	v_add_f32_e32 v43, v43, v100
	v_dual_add_f32 v77, v77, v104 :: v_dual_fmamk_f32 v100, v2, 0x3f62ad3f, v110
	v_fma_f32 v63, 0xbeb58ec6, v5, -v63
	v_fma_f32 v73, 0xbf788fa5, v5, -v73
	;; [unrolled: 1-line block ×3, first 2 shown]
	v_add_f32_e32 v91, v96, v91
	v_add_f32_e32 v96, v14, v15
	v_dual_add_f32 v83, v83, v95 :: v_dual_fmac_f32 v52, 0xbf788fa5, v4
	v_fma_f32 v95, 0x3f62ad3f, v3, -v109
	v_dual_add_f32 v37, v84, v37 :: v_dual_add_f32 v68, v1, v68
	v_fmamk_f32 v84, v2, 0xbf788fa5, v112
	v_fmac_f32_e32 v50, 0x3df6dbef, v3
	v_fma_f32 v66, 0xbf788fa5, v12, -v66
	v_dual_add_f32 v29, v29, v98 :: v_dual_add_f32 v14, v39, v101
	v_dual_add_f32 v63, v19, v63 :: v_dual_add_f32 v18, v18, v96
	v_add_f32_e32 v39, v34, v36
	v_fma_f32 v72, 0xbeb58ec6, v3, -v54
	v_fma_f32 v81, 0x3f116cb1, v4, -v111
	v_fma_f32 v97, 0xbf3f9e67, v4, -v23
	v_dual_add_f32 v15, v58, v93 :: v_dual_add_f32 v36, v29, v95
	v_add_f32_e32 v29, v33, v39
	v_fmac_f32_e32 v65, 0xbeb58ec6, v8
	v_fmac_f32_e32 v53, 0x3df6dbef, v10
	v_add_f32_e32 v39, v17, v18
	v_fmac_f32_e32 v57, 0xbeb58ec6, v4
	v_fma_f32 v70, 0x3f62ad3f, v5, -v70
	v_fma_f32 v90, 0xbf788fa5, v3, -v116
	v_dual_fmac_f32 v54, 0xbeb58ec6, v3 :: v_dual_add_f32 v81, v92, v81
	v_add_f32_e32 v89, v20, v89
	v_add_f32_e32 v92, v21, v97
	v_dual_add_f32 v20, v43, v86 :: v_dual_add_f32 v43, v94, v52
	v_dual_add_f32 v52, v0, v53 :: v_dual_add_f32 v19, v77, v72
	v_add_f32_e32 v16, v16, v39
	v_fma_f32 v49, 0x3f116cb1, v13, -v49
	v_dual_fmac_f32 v59, 0x3f62ad3f, v4 :: v_dual_add_f32 v38, v38, v70
	v_fma_f32 v62, 0xbeb58ec6, v2, -v62
	v_dual_add_f32 v17, v92, v90 :: v_dual_fmac_f32 v48, 0xbf788fa5, v9
	s_delay_alu instid0(VALU_DEP_4)
	v_dual_add_f32 v28, v28, v16 :: v_dual_add_f32 v49, v1, v49
	v_fmac_f32_e32 v44, 0x3f116cb1, v10
	v_fma_f32 v47, 0xbeb58ec6, v12, -v47
	v_add_f32_e32 v29, v32, v29
	v_fma_f32 v60, 0x3df6dbef, v2, -v60
	v_dual_add_f32 v39, v38, v62 :: v_dual_add_f32 v48, v52, v48
	v_add_f32_e32 v16, v68, v66
	s_delay_alu instid0(VALU_DEP_4)
	v_dual_add_f32 v52, v49, v47 :: v_dual_add_f32 v29, v31, v29
	v_fma_f32 v31, 0xbeb58ec6, v11, -v75
	v_add_f32_e32 v33, v63, v60
	v_fma_f32 v53, 0xbf788fa5, v11, -v103
	v_fma_f32 v80, 0x3f116cb1, v3, -v61
	;; [unrolled: 1-line block ×3, first 2 shown]
	v_add_f32_e32 v16, v16, v31
	v_fma_f32 v31, 0x3f62ad3f, v7, -v74
	v_add_f32_e32 v44, v0, v44
	v_fmac_f32_e32 v42, 0xbeb58ec6, v9
	v_fma_f32 v99, 0xbf3f9e67, v3, -v55
	v_fmac_f32_e32 v55, 0xbf3f9e67, v3
	v_add_f32_e32 v16, v16, v31
	v_fma_f32 v31, 0x3f116cb1, v5, -v102
	v_add_f32_e32 v1, v1, v13
	v_fma_f32 v12, 0x3f116cb1, v12, -v45
	v_fmac_f32_e32 v64, 0xbf788fa5, v8
	v_fma_f32 v11, 0x3df6dbef, v11, -v51
	v_add_f32_e32 v16, v16, v31
	v_fma_f32 v31, 0xbf3f9e67, v2, -v113
	v_fmac_f32_e32 v78, 0xbf3f9e67, v6
	v_fmac_f32_e32 v40, 0x3f116cb1, v9
	;; [unrolled: 1-line block ×3, first 2 shown]
	v_fma_f32 v67, 0x3f116cb1, v2, -v67
	v_add_f32_e32 v47, v16, v31
	v_add_f32_e32 v16, v52, v53
	v_fma_f32 v31, 0xbf3f9e67, v7, -v71
	v_dual_add_f32 v48, v48, v65 :: v_dual_fmac_f32 v69, 0x3f62ad3f, v6
	v_fma_f32 v7, 0xbeb58ec6, v7, -v114
	s_delay_alu instid0(VALU_DEP_3) | instskip(NEXT) | instid1(VALU_DEP_3)
	v_dual_fmac_f32 v41, 0x3f62ad3f, v10 :: v_dual_add_f32 v16, v16, v31
	v_dual_fmac_f32 v61, 0x3f116cb1, v3 :: v_dual_add_f32 v48, v48, v69
	v_fma_f32 v31, 0x3df6dbef, v5, -v82
	s_delay_alu instid0(VALU_DEP_3) | instskip(SKIP_1) | instid1(VALU_DEP_4)
	v_add_f32_e32 v0, v0, v41
	v_fma_f32 v5, 0xbf3f9e67, v5, -v105
	v_dual_add_f32 v49, v43, v61 :: v_dual_fmac_f32 v116, 0xbf788fa5, v3
	s_delay_alu instid0(VALU_DEP_4) | instskip(SKIP_4) | instid1(VALU_DEP_4)
	v_add_f32_e32 v13, v16, v31
	v_dual_add_f32 v16, v44, v42 :: v_dual_fmac_f32 v111, 0x3f116cb1, v4
	v_add_f32_e32 v0, v0, v40
	v_dual_add_f32 v57, v22, v57 :: v_dual_add_nc_u32 v40, 0x7e, v30
	v_add_f32_e32 v34, v81, v99
	v_add_f32_e32 v43, v48, v111
	;; [unrolled: 1-line block ×4, first 2 shown]
	v_fma_f32 v12, 0x3f62ad3f, v2, -v110
	v_add_nc_u32_e32 v16, 63, v30
	v_fma_f32 v2, 0xbf788fa5, v2, -v112
	v_add_f32_e32 v9, v10, v78
	v_dual_add_f32 v11, v1, v11 :: v_dual_fmac_f32 v56, 0x3df6dbef, v8
	v_add_f32_e32 v70, v79, v73
	v_add_f32_e32 v22, v83, v106
	v_dual_add_f32 v59, v87, v59 :: v_dual_add_f32 v18, v89, v84
	s_delay_alu instid0(VALU_DEP_4) | instskip(SKIP_3) | instid1(VALU_DEP_4)
	v_add_f32_e32 v10, v11, v7
	v_mad_co_u64_u32 v[7:8], null, s16, v30, 0
	v_add_f32_e32 v1, v13, v12
	v_fmac_f32_e32 v85, 0x3df6dbef, v4
	v_dual_add_f32 v11, v0, v56 :: v_dual_add_f32 v10, v10, v5
	v_lshlrev_b64_e32 v[12:13], 3, v[24:25]
	v_dual_add_f32 v21, v37, v80 :: v_dual_add_f32 v38, v59, v54
	s_delay_alu instid0(VALU_DEP_4) | instskip(SKIP_2) | instid1(VALU_DEP_3)
	v_dual_mov_b32 v0, v8 :: v_dual_add_f32 v9, v9, v85
	v_add_f32_e32 v37, v91, v100
	v_dual_add_f32 v35, v76, v88 :: v_dual_add_f32 v32, v57, v50
	v_mad_co_u64_u32 v[4:5], null, s17, v30, v[0:1]
	v_fmac_f32_e32 v109, 0x3f62ad3f, v3
	v_fmac_f32_e32 v115, 0xbeb58ec6, v6
	v_mad_co_u64_u32 v[5:6], null, s16, v16, 0
	v_add_f32_e32 v50, v70, v67
	s_delay_alu instid0(VALU_DEP_4) | instskip(NEXT) | instid1(VALU_DEP_4)
	v_add_f32_e32 v0, v9, v109
	v_dual_add_f32 v8, v11, v115 :: v_dual_add_f32 v9, v10, v2
	v_lshlrev_b64_e32 v[2:3], 3, v[26:27]
	v_mad_co_u64_u32 v[10:11], null, s16, v40, 0
	s_delay_alu instid0(VALU_DEP_3) | instskip(SKIP_3) | instid1(VALU_DEP_2)
	v_add_f32_e32 v31, v8, v23
	v_mov_b32_e32 v8, v4
	v_mov_b32_e32 v4, v6
	v_add_f32_e32 v46, v43, v55
	v_mad_co_u64_u32 v[23:24], null, s17, v16, v[4:5]
	v_add_co_u32 v4, vcc_lo, s6, v2
	s_wait_alu 0xfffd
	v_add_co_ci_u32_e32 v3, vcc_lo, s7, v3, vcc_lo
	v_mov_b32_e32 v2, v11
	s_delay_alu instid0(VALU_DEP_3) | instskip(SKIP_1) | instid1(VALU_DEP_3)
	v_add_co_u32 v41, vcc_lo, v4, v12
	s_wait_alu 0xfffd
	v_add_co_ci_u32_e32 v42, vcc_lo, v3, v13, vcc_lo
	v_lshlrev_b64_e32 v[3:4], 3, v[7:8]
	v_mov_b32_e32 v6, v23
	v_add_nc_u32_e32 v16, 0xbd, v30
	s_delay_alu instid0(VALU_DEP_3)
	v_mad_co_u64_u32 v[7:8], null, s17, v40, v[2:3]
	v_add_co_u32 v2, vcc_lo, v41, v3
	s_wait_alu 0xfffd
	v_add_co_ci_u32_e32 v3, vcc_lo, v42, v4, vcc_lo
	v_lshlrev_b64_e32 v[4:5], 3, v[5:6]
	v_mad_co_u64_u32 v[12:13], null, s16, v16, 0
	v_mov_b32_e32 v11, v7
	global_store_b64 v[2:3], v[28:29], off
	v_add_nc_u32_e32 v7, 0xfc, v30
	v_add_co_u32 v2, vcc_lo, v41, v4
	s_wait_alu 0xfffd
	v_add_co_ci_u32_e32 v3, vcc_lo, v42, v5, vcc_lo
	v_lshlrev_b64_e32 v[5:6], 3, v[10:11]
	v_mov_b32_e32 v4, v13
	v_mad_co_u64_u32 v[10:11], null, s16, v7, 0
	v_add_nc_u32_e32 v28, 0x17a, v30
	global_store_b64 v[2:3], v[17:18], off
	v_mad_co_u64_u32 v[23:24], null, s17, v16, v[4:5]
	v_add_nc_u32_e32 v16, 0x13b, v30
	v_add_co_u32 v4, vcc_lo, v41, v5
	s_wait_alu 0xfffd
	v_add_co_ci_u32_e32 v5, vcc_lo, v42, v6, vcc_lo
	v_mov_b32_e32 v6, v11
	v_mad_co_u64_u32 v[24:25], null, s16, v16, 0
	v_mov_b32_e32 v13, v23
	v_mad_co_u64_u32 v[26:27], null, s16, v28, 0
	s_delay_alu instid0(VALU_DEP_4)
	v_mad_co_u64_u32 v[6:7], null, s17, v7, v[6:7]
	global_store_b64 v[4:5], v[36:37], off
	v_lshlrev_b64_e32 v[3:4], 3, v[12:13]
	v_dual_mov_b32 v2, v25 :: v_dual_add_nc_u32 v17, 0x276, v30
	v_dual_add_f32 v8, v31, v116 :: v_dual_add_nc_u32 v13, 0x1b9, v30
	v_mov_b32_e32 v11, v6
	s_delay_alu instid0(VALU_DEP_3) | instskip(SKIP_2) | instid1(VALU_DEP_4)
	v_mad_co_u64_u32 v[5:6], null, s17, v16, v[2:3]
	v_mov_b32_e32 v2, v27
	v_add_co_u32 v3, vcc_lo, v41, v3
	v_lshlrev_b64_e32 v[6:7], 3, v[10:11]
	s_wait_alu 0xfffd
	v_add_co_ci_u32_e32 v4, vcc_lo, v42, v4, vcc_lo
	s_delay_alu instid0(VALU_DEP_3)
	v_mad_co_u64_u32 v[10:11], null, s17, v28, v[2:3]
	v_mad_co_u64_u32 v[11:12], null, s16, v13, 0
	v_mov_b32_e32 v25, v5
	v_add_co_u32 v5, vcc_lo, v41, v6
	s_wait_alu 0xfffd
	v_add_co_ci_u32_e32 v6, vcc_lo, v42, v7, vcc_lo
	v_mov_b32_e32 v27, v10
	global_store_b64 v[3:4], v[34:35], off
	v_lshlrev_b64_e32 v[3:4], 3, v[24:25]
	v_mov_b32_e32 v2, v12
	global_store_b64 v[5:6], v[21:22], off
	v_lshlrev_b64_e32 v[5:6], 3, v[26:27]
	v_add_nc_u32_e32 v16, 0x237, v30
	v_mad_co_u64_u32 v[12:13], null, s17, v13, v[2:3]
	v_add_co_u32 v2, vcc_lo, v41, v3
	s_wait_alu 0xfffd
	v_add_co_ci_u32_e32 v3, vcc_lo, v42, v4, vcc_lo
	v_add_co_u32 v4, vcc_lo, v41, v5
	v_add_nc_u32_e32 v13, 0x1f8, v30
	s_wait_alu 0xfffd
	v_add_co_ci_u32_e32 v5, vcc_lo, v42, v6, vcc_lo
	global_store_b64 v[2:3], v[19:20], off
	v_lshlrev_b64_e32 v[2:3], 3, v[11:12]
	v_mad_co_u64_u32 v[6:7], null, s16, v13, 0
	global_store_b64 v[4:5], v[14:15], off
	v_mad_co_u64_u32 v[4:5], null, s16, v16, 0
	v_mad_co_u64_u32 v[10:11], null, s16, v17, 0
	v_add_nc_u32_e32 v19, 0x2b5, v30
	v_mad_co_u64_u32 v[12:13], null, s17, v13, v[7:8]
	v_add_co_u32 v2, vcc_lo, v41, v2
	v_mad_co_u64_u32 v[13:14], null, s17, v16, v[5:6]
	v_mov_b32_e32 v5, v11
	v_mad_co_u64_u32 v[14:15], null, s16, v19, 0
	s_wait_alu 0xfffd
	v_add_co_ci_u32_e32 v3, vcc_lo, v42, v3, vcc_lo
	s_delay_alu instid0(VALU_DEP_3)
	v_mad_co_u64_u32 v[16:17], null, s17, v17, v[5:6]
	v_dual_mov_b32 v5, v13 :: v_dual_add_nc_u32 v20, 0x2f4, v30
	global_store_b64 v[2:3], v[32:33], off
	v_mov_b32_e32 v7, v12
	v_lshlrev_b64_e32 v[4:5], 3, v[4:5]
	v_mov_b32_e32 v11, v16
	v_mad_co_u64_u32 v[17:18], null, s16, v20, 0
	v_mov_b32_e32 v2, v15
	v_lshlrev_b64_e32 v[6:7], 3, v[6:7]
	s_delay_alu instid0(VALU_DEP_4) | instskip(NEXT) | instid1(VALU_DEP_3)
	v_lshlrev_b64_e32 v[10:11], 3, v[10:11]
	v_mad_co_u64_u32 v[2:3], null, s17, v19, v[2:3]
	v_mov_b32_e32 v3, v18
	s_delay_alu instid0(VALU_DEP_4) | instskip(SKIP_2) | instid1(VALU_DEP_3)
	v_add_co_u32 v6, vcc_lo, v41, v6
	s_wait_alu 0xfffd
	v_add_co_ci_u32_e32 v7, vcc_lo, v42, v7, vcc_lo
	v_mad_co_u64_u32 v[12:13], null, s17, v20, v[3:4]
	v_mov_b32_e32 v15, v2
	v_add_co_u32 v2, vcc_lo, v41, v4
	s_wait_alu 0xfffd
	v_add_co_ci_u32_e32 v3, vcc_lo, v42, v5, vcc_lo
	v_add_co_u32 v10, vcc_lo, v41, v10
	v_mov_b32_e32 v18, v12
	v_lshlrev_b64_e32 v[4:5], 3, v[14:15]
	s_wait_alu 0xfffd
	v_add_co_ci_u32_e32 v11, vcc_lo, v42, v11, vcc_lo
	s_delay_alu instid0(VALU_DEP_3) | instskip(NEXT) | instid1(VALU_DEP_3)
	v_lshlrev_b64_e32 v[12:13], 3, v[17:18]
	v_add_co_u32 v4, vcc_lo, v41, v4
	s_wait_alu 0xfffd
	v_add_co_ci_u32_e32 v5, vcc_lo, v42, v5, vcc_lo
	s_delay_alu instid0(VALU_DEP_3)
	v_add_co_u32 v12, vcc_lo, v41, v12
	s_wait_alu 0xfffd
	v_add_co_ci_u32_e32 v13, vcc_lo, v42, v13, vcc_lo
	s_clause 0x4
	global_store_b64 v[6:7], v[38:39], off
	global_store_b64 v[2:3], v[49:50], off
	;; [unrolled: 1-line block ×5, first 2 shown]
	s_nop 0
	s_sendmsg sendmsg(MSG_DEALLOC_VGPRS)
	s_endpgm
	.section	.rodata,"a",@progbits
	.p2align	6, 0x0
	.amdhsa_kernel fft_rtc_fwd_len819_factors_9_7_13_wgs_117_tpt_117_sp_op_CI_CI_sbrr_dirReg
		.amdhsa_group_segment_fixed_size 0
		.amdhsa_private_segment_fixed_size 0
		.amdhsa_kernarg_size 104
		.amdhsa_user_sgpr_count 2
		.amdhsa_user_sgpr_dispatch_ptr 0
		.amdhsa_user_sgpr_queue_ptr 0
		.amdhsa_user_sgpr_kernarg_segment_ptr 1
		.amdhsa_user_sgpr_dispatch_id 0
		.amdhsa_user_sgpr_private_segment_size 0
		.amdhsa_wavefront_size32 1
		.amdhsa_uses_dynamic_stack 0
		.amdhsa_enable_private_segment 0
		.amdhsa_system_sgpr_workgroup_id_x 1
		.amdhsa_system_sgpr_workgroup_id_y 0
		.amdhsa_system_sgpr_workgroup_id_z 0
		.amdhsa_system_sgpr_workgroup_info 0
		.amdhsa_system_vgpr_workitem_id 0
		.amdhsa_next_free_vgpr 117
		.amdhsa_next_free_sgpr 43
		.amdhsa_reserve_vcc 1
		.amdhsa_float_round_mode_32 0
		.amdhsa_float_round_mode_16_64 0
		.amdhsa_float_denorm_mode_32 3
		.amdhsa_float_denorm_mode_16_64 3
		.amdhsa_fp16_overflow 0
		.amdhsa_workgroup_processor_mode 1
		.amdhsa_memory_ordered 1
		.amdhsa_forward_progress 0
		.amdhsa_round_robin_scheduling 0
		.amdhsa_exception_fp_ieee_invalid_op 0
		.amdhsa_exception_fp_denorm_src 0
		.amdhsa_exception_fp_ieee_div_zero 0
		.amdhsa_exception_fp_ieee_overflow 0
		.amdhsa_exception_fp_ieee_underflow 0
		.amdhsa_exception_fp_ieee_inexact 0
		.amdhsa_exception_int_div_zero 0
	.end_amdhsa_kernel
	.text
.Lfunc_end0:
	.size	fft_rtc_fwd_len819_factors_9_7_13_wgs_117_tpt_117_sp_op_CI_CI_sbrr_dirReg, .Lfunc_end0-fft_rtc_fwd_len819_factors_9_7_13_wgs_117_tpt_117_sp_op_CI_CI_sbrr_dirReg
                                        ; -- End function
	.section	.AMDGPU.csdata,"",@progbits
; Kernel info:
; codeLenInByte = 8124
; NumSgprs: 45
; NumVgprs: 117
; ScratchSize: 0
; MemoryBound: 0
; FloatMode: 240
; IeeeMode: 1
; LDSByteSize: 0 bytes/workgroup (compile time only)
; SGPRBlocks: 5
; VGPRBlocks: 14
; NumSGPRsForWavesPerEU: 45
; NumVGPRsForWavesPerEU: 117
; Occupancy: 12
; WaveLimiterHint : 1
; COMPUTE_PGM_RSRC2:SCRATCH_EN: 0
; COMPUTE_PGM_RSRC2:USER_SGPR: 2
; COMPUTE_PGM_RSRC2:TRAP_HANDLER: 0
; COMPUTE_PGM_RSRC2:TGID_X_EN: 1
; COMPUTE_PGM_RSRC2:TGID_Y_EN: 0
; COMPUTE_PGM_RSRC2:TGID_Z_EN: 0
; COMPUTE_PGM_RSRC2:TIDIG_COMP_CNT: 0
	.text
	.p2alignl 7, 3214868480
	.fill 96, 4, 3214868480
	.type	__hip_cuid_be5e33e28c9ae933,@object ; @__hip_cuid_be5e33e28c9ae933
	.section	.bss,"aw",@nobits
	.globl	__hip_cuid_be5e33e28c9ae933
__hip_cuid_be5e33e28c9ae933:
	.byte	0                               ; 0x0
	.size	__hip_cuid_be5e33e28c9ae933, 1

	.ident	"AMD clang version 19.0.0git (https://github.com/RadeonOpenCompute/llvm-project roc-6.4.0 25133 c7fe45cf4b819c5991fe208aaa96edf142730f1d)"
	.section	".note.GNU-stack","",@progbits
	.addrsig
	.addrsig_sym __hip_cuid_be5e33e28c9ae933
	.amdgpu_metadata
---
amdhsa.kernels:
  - .args:
      - .actual_access:  read_only
        .address_space:  global
        .offset:         0
        .size:           8
        .value_kind:     global_buffer
      - .offset:         8
        .size:           8
        .value_kind:     by_value
      - .actual_access:  read_only
        .address_space:  global
        .offset:         16
        .size:           8
        .value_kind:     global_buffer
      - .actual_access:  read_only
        .address_space:  global
        .offset:         24
        .size:           8
        .value_kind:     global_buffer
      - .actual_access:  read_only
        .address_space:  global
        .offset:         32
        .size:           8
        .value_kind:     global_buffer
      - .offset:         40
        .size:           8
        .value_kind:     by_value
      - .actual_access:  read_only
        .address_space:  global
        .offset:         48
        .size:           8
        .value_kind:     global_buffer
      - .actual_access:  read_only
        .address_space:  global
        .offset:         56
        .size:           8
        .value_kind:     global_buffer
      - .offset:         64
        .size:           4
        .value_kind:     by_value
      - .actual_access:  read_only
        .address_space:  global
        .offset:         72
        .size:           8
        .value_kind:     global_buffer
      - .actual_access:  read_only
        .address_space:  global
        .offset:         80
        .size:           8
        .value_kind:     global_buffer
      - .actual_access:  read_only
        .address_space:  global
        .offset:         88
        .size:           8
        .value_kind:     global_buffer
      - .actual_access:  write_only
        .address_space:  global
        .offset:         96
        .size:           8
        .value_kind:     global_buffer
    .group_segment_fixed_size: 0
    .kernarg_segment_align: 8
    .kernarg_segment_size: 104
    .language:       OpenCL C
    .language_version:
      - 2
      - 0
    .max_flat_workgroup_size: 117
    .name:           fft_rtc_fwd_len819_factors_9_7_13_wgs_117_tpt_117_sp_op_CI_CI_sbrr_dirReg
    .private_segment_fixed_size: 0
    .sgpr_count:     45
    .sgpr_spill_count: 0
    .symbol:         fft_rtc_fwd_len819_factors_9_7_13_wgs_117_tpt_117_sp_op_CI_CI_sbrr_dirReg.kd
    .uniform_work_group_size: 1
    .uses_dynamic_stack: false
    .vgpr_count:     117
    .vgpr_spill_count: 0
    .wavefront_size: 32
    .workgroup_processor_mode: 1
amdhsa.target:   amdgcn-amd-amdhsa--gfx1201
amdhsa.version:
  - 1
  - 2
...

	.end_amdgpu_metadata
